;; amdgpu-corpus repo=ROCm/rocFFT kind=compiled arch=gfx906 opt=O3
	.text
	.amdgcn_target "amdgcn-amd-amdhsa--gfx906"
	.amdhsa_code_object_version 6
	.protected	fft_rtc_back_len495_factors_11_9_5_wgs_55_tpt_55_half_ip_CI_unitstride_sbrr_dirReg ; -- Begin function fft_rtc_back_len495_factors_11_9_5_wgs_55_tpt_55_half_ip_CI_unitstride_sbrr_dirReg
	.globl	fft_rtc_back_len495_factors_11_9_5_wgs_55_tpt_55_half_ip_CI_unitstride_sbrr_dirReg
	.p2align	8
	.type	fft_rtc_back_len495_factors_11_9_5_wgs_55_tpt_55_half_ip_CI_unitstride_sbrr_dirReg,@function
fft_rtc_back_len495_factors_11_9_5_wgs_55_tpt_55_half_ip_CI_unitstride_sbrr_dirReg: ; @fft_rtc_back_len495_factors_11_9_5_wgs_55_tpt_55_half_ip_CI_unitstride_sbrr_dirReg
; %bb.0:
	s_load_dwordx2 s[12:13], s[4:5], 0x50
	s_load_dwordx4 s[8:11], s[4:5], 0x0
	s_load_dwordx2 s[2:3], s[4:5], 0x18
	v_mul_u32_u24_e32 v1, 0x4a8, v0
	v_add_u32_sdwa v5, s6, v1 dst_sel:DWORD dst_unused:UNUSED_PAD src0_sel:DWORD src1_sel:WORD_1
	v_mov_b32_e32 v3, 0
	s_waitcnt lgkmcnt(0)
	v_cmp_lt_u64_e64 s[0:1], s[10:11], 2
	v_mov_b32_e32 v1, 0
	v_mov_b32_e32 v6, v3
	s_and_b64 vcc, exec, s[0:1]
	v_mov_b32_e32 v2, 0
	s_cbranch_vccnz .LBB0_8
; %bb.1:
	s_load_dwordx2 s[0:1], s[4:5], 0x10
	s_add_u32 s6, s2, 8
	s_addc_u32 s7, s3, 0
	v_mov_b32_e32 v1, 0
	v_mov_b32_e32 v2, 0
	s_waitcnt lgkmcnt(0)
	s_add_u32 s14, s0, 8
	s_addc_u32 s15, s1, 0
	s_mov_b64 s[16:17], 1
.LBB0_2:                                ; =>This Inner Loop Header: Depth=1
	s_load_dwordx2 s[18:19], s[14:15], 0x0
                                        ; implicit-def: $vgpr7_vgpr8
	s_waitcnt lgkmcnt(0)
	v_or_b32_e32 v4, s19, v6
	v_cmp_ne_u64_e32 vcc, 0, v[3:4]
	s_and_saveexec_b64 s[0:1], vcc
	s_xor_b64 s[20:21], exec, s[0:1]
	s_cbranch_execz .LBB0_4
; %bb.3:                                ;   in Loop: Header=BB0_2 Depth=1
	v_cvt_f32_u32_e32 v4, s18
	v_cvt_f32_u32_e32 v7, s19
	s_sub_u32 s0, 0, s18
	s_subb_u32 s1, 0, s19
	v_mac_f32_e32 v4, 0x4f800000, v7
	v_rcp_f32_e32 v4, v4
	v_mul_f32_e32 v4, 0x5f7ffffc, v4
	v_mul_f32_e32 v7, 0x2f800000, v4
	v_trunc_f32_e32 v7, v7
	v_mac_f32_e32 v4, 0xcf800000, v7
	v_cvt_u32_f32_e32 v7, v7
	v_cvt_u32_f32_e32 v4, v4
	v_mul_lo_u32 v8, s0, v7
	v_mul_hi_u32 v9, s0, v4
	v_mul_lo_u32 v11, s1, v4
	v_mul_lo_u32 v10, s0, v4
	v_add_u32_e32 v8, v9, v8
	v_add_u32_e32 v8, v8, v11
	v_mul_hi_u32 v9, v4, v10
	v_mul_lo_u32 v11, v4, v8
	v_mul_hi_u32 v13, v4, v8
	v_mul_hi_u32 v12, v7, v10
	v_mul_lo_u32 v10, v7, v10
	v_mul_hi_u32 v14, v7, v8
	v_add_co_u32_e32 v9, vcc, v9, v11
	v_addc_co_u32_e32 v11, vcc, 0, v13, vcc
	v_mul_lo_u32 v8, v7, v8
	v_add_co_u32_e32 v9, vcc, v9, v10
	v_addc_co_u32_e32 v9, vcc, v11, v12, vcc
	v_addc_co_u32_e32 v10, vcc, 0, v14, vcc
	v_add_co_u32_e32 v8, vcc, v9, v8
	v_addc_co_u32_e32 v9, vcc, 0, v10, vcc
	v_add_co_u32_e32 v4, vcc, v4, v8
	v_addc_co_u32_e32 v7, vcc, v7, v9, vcc
	v_mul_lo_u32 v8, s0, v7
	v_mul_hi_u32 v9, s0, v4
	v_mul_lo_u32 v10, s1, v4
	v_mul_lo_u32 v11, s0, v4
	v_add_u32_e32 v8, v9, v8
	v_add_u32_e32 v8, v8, v10
	v_mul_lo_u32 v12, v4, v8
	v_mul_hi_u32 v13, v4, v11
	v_mul_hi_u32 v14, v4, v8
	;; [unrolled: 1-line block ×3, first 2 shown]
	v_mul_lo_u32 v11, v7, v11
	v_mul_hi_u32 v9, v7, v8
	v_add_co_u32_e32 v12, vcc, v13, v12
	v_addc_co_u32_e32 v13, vcc, 0, v14, vcc
	v_mul_lo_u32 v8, v7, v8
	v_add_co_u32_e32 v11, vcc, v12, v11
	v_addc_co_u32_e32 v10, vcc, v13, v10, vcc
	v_addc_co_u32_e32 v9, vcc, 0, v9, vcc
	v_add_co_u32_e32 v8, vcc, v10, v8
	v_addc_co_u32_e32 v9, vcc, 0, v9, vcc
	v_add_co_u32_e32 v4, vcc, v4, v8
	v_addc_co_u32_e32 v9, vcc, v7, v9, vcc
	v_mad_u64_u32 v[7:8], s[0:1], v5, v9, 0
	v_mul_hi_u32 v10, v5, v4
	v_add_co_u32_e32 v11, vcc, v10, v7
	v_addc_co_u32_e32 v12, vcc, 0, v8, vcc
	v_mad_u64_u32 v[7:8], s[0:1], v6, v4, 0
	v_mad_u64_u32 v[9:10], s[0:1], v6, v9, 0
	v_add_co_u32_e32 v4, vcc, v11, v7
	v_addc_co_u32_e32 v4, vcc, v12, v8, vcc
	v_addc_co_u32_e32 v7, vcc, 0, v10, vcc
	v_add_co_u32_e32 v4, vcc, v4, v9
	v_addc_co_u32_e32 v9, vcc, 0, v7, vcc
	v_mul_lo_u32 v10, s19, v4
	v_mul_lo_u32 v11, s18, v9
	v_mad_u64_u32 v[7:8], s[0:1], s18, v4, 0
	v_add3_u32 v8, v8, v11, v10
	v_sub_u32_e32 v10, v6, v8
	v_mov_b32_e32 v11, s19
	v_sub_co_u32_e32 v7, vcc, v5, v7
	v_subb_co_u32_e64 v10, s[0:1], v10, v11, vcc
	v_subrev_co_u32_e64 v11, s[0:1], s18, v7
	v_subbrev_co_u32_e64 v10, s[0:1], 0, v10, s[0:1]
	v_cmp_le_u32_e64 s[0:1], s19, v10
	v_cndmask_b32_e64 v12, 0, -1, s[0:1]
	v_cmp_le_u32_e64 s[0:1], s18, v11
	v_cndmask_b32_e64 v11, 0, -1, s[0:1]
	v_cmp_eq_u32_e64 s[0:1], s19, v10
	v_cndmask_b32_e64 v10, v12, v11, s[0:1]
	v_add_co_u32_e64 v11, s[0:1], 2, v4
	v_addc_co_u32_e64 v12, s[0:1], 0, v9, s[0:1]
	v_add_co_u32_e64 v13, s[0:1], 1, v4
	v_addc_co_u32_e64 v14, s[0:1], 0, v9, s[0:1]
	v_subb_co_u32_e32 v8, vcc, v6, v8, vcc
	v_cmp_ne_u32_e64 s[0:1], 0, v10
	v_cmp_le_u32_e32 vcc, s19, v8
	v_cndmask_b32_e64 v10, v14, v12, s[0:1]
	v_cndmask_b32_e64 v12, 0, -1, vcc
	v_cmp_le_u32_e32 vcc, s18, v7
	v_cndmask_b32_e64 v7, 0, -1, vcc
	v_cmp_eq_u32_e32 vcc, s19, v8
	v_cndmask_b32_e32 v7, v12, v7, vcc
	v_cmp_ne_u32_e32 vcc, 0, v7
	v_cndmask_b32_e64 v7, v13, v11, s[0:1]
	v_cndmask_b32_e32 v8, v9, v10, vcc
	v_cndmask_b32_e32 v7, v4, v7, vcc
.LBB0_4:                                ;   in Loop: Header=BB0_2 Depth=1
	s_andn2_saveexec_b64 s[0:1], s[20:21]
	s_cbranch_execz .LBB0_6
; %bb.5:                                ;   in Loop: Header=BB0_2 Depth=1
	v_cvt_f32_u32_e32 v4, s18
	s_sub_i32 s20, 0, s18
	v_rcp_iflag_f32_e32 v4, v4
	v_mul_f32_e32 v4, 0x4f7ffffe, v4
	v_cvt_u32_f32_e32 v4, v4
	v_mul_lo_u32 v7, s20, v4
	v_mul_hi_u32 v7, v4, v7
	v_add_u32_e32 v4, v4, v7
	v_mul_hi_u32 v4, v5, v4
	v_mul_lo_u32 v7, v4, s18
	v_add_u32_e32 v8, 1, v4
	v_sub_u32_e32 v7, v5, v7
	v_subrev_u32_e32 v9, s18, v7
	v_cmp_le_u32_e32 vcc, s18, v7
	v_cndmask_b32_e32 v7, v7, v9, vcc
	v_cndmask_b32_e32 v4, v4, v8, vcc
	v_add_u32_e32 v8, 1, v4
	v_cmp_le_u32_e32 vcc, s18, v7
	v_cndmask_b32_e32 v7, v4, v8, vcc
	v_mov_b32_e32 v8, v3
.LBB0_6:                                ;   in Loop: Header=BB0_2 Depth=1
	s_or_b64 exec, exec, s[0:1]
	v_mul_lo_u32 v4, v8, s18
	v_mul_lo_u32 v11, v7, s19
	v_mad_u64_u32 v[9:10], s[0:1], v7, s18, 0
	s_load_dwordx2 s[0:1], s[6:7], 0x0
	s_add_u32 s16, s16, 1
	v_add3_u32 v4, v10, v11, v4
	v_sub_co_u32_e32 v5, vcc, v5, v9
	v_subb_co_u32_e32 v4, vcc, v6, v4, vcc
	s_waitcnt lgkmcnt(0)
	v_mul_lo_u32 v4, s0, v4
	v_mul_lo_u32 v6, s1, v5
	v_mad_u64_u32 v[1:2], s[0:1], s0, v5, v[1:2]
	s_addc_u32 s17, s17, 0
	s_add_u32 s6, s6, 8
	v_add3_u32 v2, v6, v2, v4
	v_mov_b32_e32 v4, s10
	v_mov_b32_e32 v5, s11
	s_addc_u32 s7, s7, 0
	v_cmp_ge_u64_e32 vcc, s[16:17], v[4:5]
	s_add_u32 s14, s14, 8
	s_addc_u32 s15, s15, 0
	s_cbranch_vccnz .LBB0_9
; %bb.7:                                ;   in Loop: Header=BB0_2 Depth=1
	v_mov_b32_e32 v5, v7
	v_mov_b32_e32 v6, v8
	s_branch .LBB0_2
.LBB0_8:
	v_mov_b32_e32 v8, v6
	v_mov_b32_e32 v7, v5
.LBB0_9:
	s_lshl_b64 s[0:1], s[10:11], 3
	s_add_u32 s0, s2, s0
	s_addc_u32 s1, s3, s1
	s_load_dwordx2 s[2:3], s[0:1], 0x0
	s_load_dwordx2 s[6:7], s[4:5], 0x20
	s_waitcnt lgkmcnt(0)
	v_mad_u64_u32 v[1:2], s[0:1], s2, v7, v[1:2]
	s_mov_b32 s0, 0x4a7904b
	v_mul_lo_u32 v3, s2, v8
	v_mul_lo_u32 v4, s3, v7
	v_mul_hi_u32 v5, v0, s0
	v_cmp_gt_u64_e32 vcc, s[6:7], v[7:8]
	v_add3_u32 v2, v4, v2, v3
	v_mul_u32_u24_e32 v3, 55, v5
	v_sub_u32_e32 v0, v0, v3
	v_lshlrev_b64 v[2:3], 2, v[1:2]
	v_lshl_add_u32 v14, v0, 2, 0
	s_and_saveexec_b64 s[2:3], vcc
	s_cbranch_execz .LBB0_11
; %bb.10:
	v_mov_b32_e32 v1, 0
	v_mov_b32_e32 v4, s13
	v_add_co_u32_e64 v6, s[0:1], s12, v2
	v_addc_co_u32_e64 v7, s[0:1], v4, v3, s[0:1]
	v_lshlrev_b64 v[4:5], 2, v[0:1]
	v_add_co_u32_e64 v4, s[0:1], v6, v4
	v_addc_co_u32_e64 v5, s[0:1], v7, v5, s[0:1]
	global_load_dword v1, v[4:5], off
	global_load_dword v6, v[4:5], off offset:220
	global_load_dword v7, v[4:5], off offset:440
	;; [unrolled: 1-line block ×8, first 2 shown]
	v_add_u32_e32 v4, 0x200, v14
	v_add_u32_e32 v5, 0x400, v14
	s_waitcnt vmcnt(7)
	ds_write2_b32 v14, v1, v6 offset1:55
	s_waitcnt vmcnt(5)
	ds_write2_b32 v14, v7, v8 offset0:110 offset1:165
	s_waitcnt vmcnt(3)
	ds_write2_b32 v4, v9, v10 offset0:92 offset1:147
	;; [unrolled: 2-line block ×3, first 2 shown]
	s_waitcnt vmcnt(0)
	ds_write_b32 v14, v13 offset:1760
.LBB0_11:
	s_or_b64 exec, exec, s[2:3]
	s_waitcnt lgkmcnt(0)
	; wave barrier
	s_waitcnt lgkmcnt(0)
	ds_read2_b32 v[4:5], v14 offset1:45
	ds_read2_b32 v[8:9], v14 offset0:90 offset1:135
	ds_read_b32 v37, v14 offset:1800
	v_add_u32_e32 v16, 0x400, v14
	ds_read2_b32 v[6:7], v16 offset0:104 offset1:149
	ds_read2_b32 v[12:13], v14 offset0:180 offset1:225
	;; [unrolled: 1-line block ×3, first 2 shown]
	s_mov_b32 s17, 0xbb47
	s_waitcnt lgkmcnt(3)
	v_pk_add_f16 v18, v5, v37 neg_lo:[0,1] neg_hi:[0,1]
	v_pk_add_f16 v22, v37, v5
	s_waitcnt lgkmcnt(2)
	v_pk_add_f16 v17, v8, v7 neg_lo:[0,1] neg_hi:[0,1]
	v_pk_mul_f16 v1, v18, s17 op_sel_hi:[1,0]
	s_movk_i32 s5, 0x36a6
	s_mov_b32 s4, 0xba0c
	v_pk_add_f16 v21, v7, v8
	v_pk_fma_f16 v26, v22, s5, v1 op_sel:[0,0,1] op_sel_hi:[1,0,0] neg_lo:[0,0,1] neg_hi:[0,0,1]
	v_pk_fma_f16 v27, v22, s5, v1 op_sel:[0,0,1] op_sel_hi:[1,0,0]
	v_pk_mul_f16 v1, v17, s4 op_sel_hi:[1,0]
	s_mov_b32 s6, 0xb93d
	s_movk_i32 s16, 0x3482
	v_pk_add_f16 v20, v9, v6 neg_lo:[0,1] neg_hi:[0,1]
	v_pk_add_f16 v19, v6, v9
	v_pk_fma_f16 v29, v21, s6, v1 op_sel:[0,0,1] op_sel_hi:[1,0,0] neg_lo:[0,0,1] neg_hi:[0,0,1]
	v_pk_fma_f16 v30, v21, s6, v1 op_sel:[0,0,1] op_sel_hi:[1,0,0]
	s_mov_b32 s11, 0xbbad
	v_pk_mul_f16 v1, v20, s16 op_sel_hi:[1,0]
	s_movk_i32 s15, 0x3beb
	s_waitcnt lgkmcnt(0)
	v_pk_add_f16 v23, v12, v11 neg_lo:[0,1] neg_hi:[0,1]
	s_movk_i32 s10, 0x3853
	v_pk_add_f16 v24, v13, v10 neg_lo:[0,1] neg_hi:[0,1]
	v_pk_fma_f16 v31, v19, s11, v1 op_sel:[0,0,1] op_sel_hi:[1,0,0] neg_lo:[0,0,1] neg_hi:[0,0,1]
	v_pk_fma_f16 v32, v19, s11, v1 op_sel:[0,0,1] op_sel_hi:[1,0,0]
	s_mov_b32 s7, 0xb08e
	v_pk_add_f16 v25, v11, v12
	v_pk_mul_f16 v1, v23, s15 op_sel_hi:[1,0]
	s_movk_i32 s14, 0x3abb
	v_pk_add_f16 v28, v10, v13
	v_pk_mul_f16 v15, v24, s10 op_sel_hi:[1,0]
	v_pk_fma_f16 v33, v25, s7, v1 op_sel:[0,0,1] op_sel_hi:[1,0,0] neg_lo:[0,0,1] neg_hi:[0,0,1]
	v_pk_fma_f16 v34, v25, s7, v1 op_sel:[0,0,1] op_sel_hi:[1,0,0]
	v_add_f16_e32 v1, v4, v26
	v_pk_fma_f16 v35, v28, s14, v15 op_sel:[0,0,1] op_sel_hi:[1,0,0] neg_lo:[0,0,1] neg_hi:[0,0,1]
	v_pk_fma_f16 v36, v28, s14, v15 op_sel:[0,0,1] op_sel_hi:[1,0,0]
	v_add_f16_sdwa v15, v4, v27 dst_sel:DWORD dst_unused:UNUSED_PAD src0_sel:WORD_1 src1_sel:WORD_1
	v_add_f16_e32 v1, v29, v1
	v_add_f16_sdwa v15, v30, v15 dst_sel:DWORD dst_unused:UNUSED_PAD src0_sel:WORD_1 src1_sel:DWORD
	v_add_f16_e32 v1, v31, v1
	v_add_f16_sdwa v15, v32, v15 dst_sel:DWORD dst_unused:UNUSED_PAD src0_sel:WORD_1 src1_sel:DWORD
	;; [unrolled: 2-line block ×4, first 2 shown]
	v_cmp_gt_u32_e64 s[0:1], 45, v0
	s_waitcnt lgkmcnt(0)
	; wave barrier
	s_and_saveexec_b64 s[2:3], s[0:1]
	s_cbranch_execz .LBB0_13
; %bb.12:
	v_pk_add_f16 v5, v4, v5
	v_pk_add_f16 v5, v5, v8
	;; [unrolled: 1-line block ×6, first 2 shown]
	s_mov_b32 s18, 0xb853
	v_pk_add_f16 v5, v5, v11
	v_pk_mul_f16 v8, v18, s18 op_sel_hi:[1,0]
	v_pk_add_f16 v5, v5, v6
	s_mov_b32 s0, 0xffff
	v_pk_mul_f16 v9, v17, s17 op_sel_hi:[1,0]
	v_pk_add_f16 v5, v5, v7
	v_pk_fma_f16 v6, v22, s14, v8 op_sel:[0,0,1] op_sel_hi:[1,0,0]
	v_pk_fma_f16 v7, v22, s14, v8 op_sel:[0,0,1] op_sel_hi:[1,0,0] neg_lo:[0,0,1] neg_hi:[0,0,1]
	s_mov_b32 s1, 0xbbeb
	v_bfi_b32 v8, s0, v6, v7
	v_pk_fma_f16 v10, v21, s5, v9 op_sel:[0,0,1] op_sel_hi:[1,0,0]
	v_pk_fma_f16 v9, v21, s5, v9 op_sel:[0,0,1] op_sel_hi:[1,0,0] neg_lo:[0,0,1] neg_hi:[0,0,1]
	v_pk_mul_f16 v12, v20, s1 op_sel_hi:[1,0]
	v_pk_add_f16 v8, v4, v8
	v_bfi_b32 v11, s0, v10, v9
	v_pk_add_f16 v8, v11, v8
	v_pk_fma_f16 v11, v19, s7, v12 op_sel:[0,0,1] op_sel_hi:[1,0,0]
	v_pk_fma_f16 v12, v19, s7, v12 op_sel:[0,0,1] op_sel_hi:[1,0,0] neg_lo:[0,0,1] neg_hi:[0,0,1]
	v_bfi_b32 v13, s0, v11, v12
	v_pk_add_f16 v8, v13, v8
	v_pk_mul_f16 v13, v23, s4 op_sel_hi:[1,0]
	v_pk_add_f16 v5, v5, v37
	v_pk_fma_f16 v37, v25, s6, v13 op_sel:[0,0,1] op_sel_hi:[1,0,0]
	v_pk_fma_f16 v13, v25, s6, v13 op_sel:[0,0,1] op_sel_hi:[1,0,0] neg_lo:[0,0,1] neg_hi:[0,0,1]
	v_bfi_b32 v38, s0, v37, v13
	s_mov_b32 s17, 0xb482
	v_pk_add_f16 v8, v38, v8
	v_pk_mul_f16 v38, v24, s17 op_sel_hi:[1,0]
	v_pk_fma_f16 v39, v28, s11, v38 op_sel:[0,0,1] op_sel_hi:[1,0,0]
	v_pk_fma_f16 v38, v28, s11, v38 op_sel:[0,0,1] op_sel_hi:[1,0,0] neg_lo:[0,0,1] neg_hi:[0,0,1]
	v_bfi_b32 v40, s0, v39, v38
	v_pk_add_f16 v8, v40, v8
	v_mad_u32_u24 v40, v0, 40, v14
	ds_write2_b32 v40, v5, v8 offset1:1
	v_mul_f16_e32 v5, 0xbbeb, v18
	v_lshrrev_b32_e32 v8, 16, v22
	v_fma_f16 v41, v8, s7, v5
	v_mul_f16_e32 v42, 0x3482, v17
	v_lshrrev_b32_e32 v43, 16, v21
	v_add_f16_sdwa v41, v4, v41 dst_sel:DWORD dst_unused:UNUSED_PAD src0_sel:WORD_1 src1_sel:DWORD
	v_fma_f16 v44, v43, s11, v42
	v_add_f16_e32 v41, v44, v41
	v_mul_f16_e32 v44, 0x3b47, v20
	v_lshrrev_b32_e32 v45, 16, v19
	v_fma_f16 v46, v45, s5, v44
	v_add_f16_e32 v41, v46, v41
	v_mul_f16_e32 v46, 0xb853, v23
	v_lshrrev_b32_e32 v47, 16, v25
	;; [unrolled: 4-line block ×3, first 2 shown]
	v_fma_f16 v50, v49, s6, v48
	v_add_f16_e32 v41, v50, v41
	v_mul_f16_sdwa v50, v18, s1 dst_sel:DWORD dst_unused:UNUSED_PAD src0_sel:WORD_1 src1_sel:DWORD
	v_fma_f16 v51, v22, s7, -v50
	v_mul_f16_sdwa v52, v17, s16 dst_sel:DWORD dst_unused:UNUSED_PAD src0_sel:WORD_1 src1_sel:DWORD
	v_add_f16_e32 v51, v4, v51
	v_fma_f16 v53, v21, s11, -v52
	s_movk_i32 s16, 0x3b47
	v_add_f16_e32 v51, v53, v51
	v_mul_f16_sdwa v53, v20, s16 dst_sel:DWORD dst_unused:UNUSED_PAD src0_sel:WORD_1 src1_sel:DWORD
	v_fma_f16 v54, v19, s5, -v53
	v_add_f16_e32 v51, v54, v51
	v_mul_f16_sdwa v54, v23, s18 dst_sel:DWORD dst_unused:UNUSED_PAD src0_sel:WORD_1 src1_sel:DWORD
	v_fma_f16 v55, v25, s14, -v54
	;; [unrolled: 3-line block ×3, first 2 shown]
	v_add_f16_e32 v51, v56, v51
	v_mul_f16_e32 v56, 0xba0c, v18
	v_fma_f16 v57, v8, s6, v56
	v_mul_f16_e32 v58, 0x3beb, v17
	v_add_f16_sdwa v57, v4, v57 dst_sel:DWORD dst_unused:UNUSED_PAD src0_sel:WORD_1 src1_sel:DWORD
	v_fma_f16 v59, v43, s7, v58
	v_add_f16_e32 v57, v59, v57
	v_mul_f16_e32 v59, 0xb853, v20
	v_fma_f16 v60, v45, s14, v59
	v_add_f16_e32 v57, v60, v57
	v_mul_f16_e32 v60, 0xb482, v23
	;; [unrolled: 3-line block ×3, first 2 shown]
	v_fma_f16 v5, v8, s7, -v5
	v_fma_f16 v62, v49, s5, v61
	v_fma_f16 v56, v8, s6, -v56
	v_fma_f16 v8, v43, s11, -v42
	v_add_f16_sdwa v5, v4, v5 dst_sel:DWORD dst_unused:UNUSED_PAD src0_sel:WORD_1 src1_sel:DWORD
	v_add_f16_e32 v57, v62, v57
	v_mul_f16_sdwa v62, v18, s4 dst_sel:DWORD dst_unused:UNUSED_PAD src0_sel:WORD_1 src1_sel:DWORD
	v_add_f16_sdwa v56, v4, v56 dst_sel:DWORD dst_unused:UNUSED_PAD src0_sel:WORD_1 src1_sel:DWORD
	v_fma_f16 v58, v43, s7, -v58
	v_add_f16_e32 v5, v8, v5
	v_fma_f16 v8, v45, s5, -v44
	v_fma_f16 v63, v22, s6, -v62
	v_mul_f16_sdwa v64, v17, s15 dst_sel:DWORD dst_unused:UNUSED_PAD src0_sel:WORD_1 src1_sel:DWORD
	v_add_f16_e32 v56, v58, v56
	v_fma_f16 v58, v45, s14, -v59
	v_add_f16_e32 v5, v8, v5
	v_fma_f16 v8, v47, s14, -v46
	v_add_f16_e32 v63, v4, v63
	v_fma_f16 v65, v21, s7, -v64
	v_add_f16_e32 v56, v58, v56
	v_fma_f16 v58, v47, s11, -v60
	v_add_f16_e32 v5, v8, v5
	v_fma_f16 v8, v49, s6, -v48
	v_add_f16_e32 v63, v65, v63
	v_mul_f16_sdwa v65, v20, s18 dst_sel:DWORD dst_unused:UNUSED_PAD src0_sel:WORD_1 src1_sel:DWORD
	v_add_f16_e32 v56, v58, v56
	v_fma_f16 v58, v49, s5, -v61
	v_add_f16_e32 v5, v8, v5
	v_fma_f16 v8, v22, s7, v50
	v_fma_f16 v66, v19, s14, -v65
	v_add_f16_e32 v56, v58, v56
	v_fma_f16 v58, v22, s6, v62
	v_add_f16_e32 v8, v4, v8
	v_fma_f16 v42, v21, s11, v52
	v_bfi_b32 v26, s0, v27, v26
	v_add_f16_e32 v63, v66, v63
	v_mul_f16_sdwa v66, v23, s17 dst_sel:DWORD dst_unused:UNUSED_PAD src0_sel:WORD_1 src1_sel:DWORD
	v_add_f16_e32 v58, v4, v58
	v_fma_f16 v59, v21, s7, v64
	v_add_f16_e32 v8, v42, v8
	v_fma_f16 v42, v19, s5, v53
	v_bfi_b32 v27, s0, v30, v29
	v_pk_add_f16 v26, v4, v26
	v_fma_f16 v67, v25, s11, -v66
	v_add_f16_e32 v58, v59, v58
	v_fma_f16 v59, v19, s14, v65
	v_add_f16_e32 v8, v42, v8
	v_fma_f16 v42, v25, s14, v54
	v_bfi_b32 v29, s0, v32, v31
	v_pk_add_f16 v26, v27, v26
	v_add_f16_e32 v63, v67, v63
	v_mul_f16_sdwa v67, v24, s16 dst_sel:DWORD dst_unused:UNUSED_PAD src0_sel:WORD_1 src1_sel:DWORD
	v_add_f16_e32 v58, v59, v58
	v_fma_f16 v59, v25, s11, v66
	v_add_f16_e32 v8, v42, v8
	v_fma_f16 v42, v28, s6, v55
	v_bfi_b32 v30, s0, v34, v33
	v_pk_add_f16 v26, v29, v26
	v_add_f16_e32 v58, v59, v58
	v_fma_f16 v59, v28, s5, v67
	v_add_f16_e32 v8, v42, v8
	v_bfi_b32 v31, s0, v36, v35
	v_pk_add_f16 v26, v30, v26
	v_add_f16_e32 v58, v59, v58
	v_pk_add_f16 v26, v31, v26
	v_pack_b32_f16 v5, v8, v5
	ds_write2_b32 v40, v26, v5 offset0:2 offset1:3
	v_pack_b32_f16 v5, v58, v56
	ds_write_b32 v40, v5 offset:16
	v_pk_mul_f16 v5, v22, s11 op_sel_hi:[1,0]
	v_pk_fma_f16 v8, v18, s17, v5 op_sel:[0,0,1] op_sel_hi:[1,0,0]
	v_pk_mul_f16 v21, v21, s14 op_sel_hi:[1,0]
	v_pk_fma_f16 v5, v18, s17, v5 op_sel:[0,0,1] op_sel_hi:[1,0,0] neg_lo:[1,0,0] neg_hi:[1,0,0]
	v_pk_fma_f16 v26, v17, s10, v21 op_sel:[0,0,1] op_sel_hi:[1,0,0]
	v_pk_mul_f16 v19, v19, s6 op_sel_hi:[1,0]
	v_pk_fma_f16 v17, v17, s10, v21 op_sel:[0,0,1] op_sel_hi:[1,0,0] neg_lo:[1,0,0] neg_hi:[1,0,0]
	v_pk_add_f16 v5, v4, v5 op_sel:[1,0] op_sel_hi:[0,1]
	v_pk_mul_f16 v25, v25, s5 op_sel_hi:[1,0]
	v_pk_add_f16 v5, v17, v5
	v_pk_fma_f16 v17, v20, s4, v19 op_sel:[0,0,1] op_sel_hi:[1,0,0] neg_lo:[1,0,0] neg_hi:[1,0,0]
	v_fma_f16 v68, v28, s5, -v67
	v_alignbit_b32 v22, s0, v4, 16
	v_pk_mul_f16 v28, v28, s7 op_sel_hi:[1,0]
	v_pk_add_f16 v5, v17, v5
	v_pk_fma_f16 v17, v23, s16, v25 op_sel:[0,0,1] op_sel_hi:[1,0,0] neg_lo:[1,0,0] neg_hi:[1,0,0]
	v_pk_add_f16 v22, v22, v8
	v_pk_add_f16 v5, v17, v5
	v_pk_fma_f16 v17, v24, s1, v28 op_sel:[0,0,1] op_sel_hi:[1,0,0] neg_lo:[1,0,0] neg_hi:[1,0,0]
	v_alignbit_b32 v8, s0, v8, 16
	v_pk_fma_f16 v27, v20, s4, v19 op_sel:[0,0,1] op_sel_hi:[1,0,0]
	v_pk_add_f16 v5, v17, v5
	v_pk_add_f16 v8, v4, v8
	v_alignbit_b32 v17, s0, v26, 16
	v_pk_add_f16 v22, v26, v22
	v_pk_fma_f16 v18, v23, s16, v25 op_sel:[0,0,1] op_sel_hi:[1,0,0]
	v_pk_add_f16 v8, v17, v8
	v_alignbit_b32 v17, s0, v27, 16
	v_pk_add_f16 v22, v27, v22
	v_pk_fma_f16 v21, v24, s1, v28 op_sel:[0,0,1] op_sel_hi:[1,0,0]
	v_pk_add_f16 v8, v17, v8
	v_alignbit_b32 v17, s0, v18, 16
	v_pk_add_f16 v22, v18, v22
	v_pk_add_f16 v8, v17, v8
	v_alignbit_b32 v17, s0, v21, 16
	v_pk_add_f16 v22, v21, v22
	v_pk_add_f16 v8, v17, v8
	v_add_f16_e32 v63, v68, v63
	v_alignbit_b32 v17, v22, v5, 16
	v_pack_b32_f16 v5, v8, v5
	ds_write2_b32 v40, v5, v17 offset0:5 offset1:6
	v_pack_b32_f16 v5, v51, v41
	v_pack_b32_f16 v8, v63, v57
	ds_write2_b32 v40, v8, v5 offset0:7 offset1:8
	v_bfi_b32 v5, s0, v7, v6
	v_pk_add_f16 v4, v4, v5
	v_bfi_b32 v5, s0, v9, v10
	v_pk_add_f16 v4, v5, v4
	;; [unrolled: 2-line block ×4, first 2 shown]
	v_bfi_b32 v5, s0, v38, v39
	s_mov_b32 s0, 0x5040100
	v_pk_add_f16 v4, v5, v4
	v_perm_b32 v5, v15, v1, s0
	ds_write2_b32 v40, v5, v4 offset0:9 offset1:10
.LBB0_13:
	s_or_b64 exec, exec, s[2:3]
	s_movk_i32 s0, 0x75
	v_mul_lo_u16_sdwa v4, v0, s0 dst_sel:DWORD dst_unused:UNUSED_PAD src0_sel:BYTE_0 src1_sel:DWORD
	v_sub_u16_sdwa v5, v0, v4 dst_sel:DWORD dst_unused:UNUSED_PAD src0_sel:DWORD src1_sel:BYTE_1
	v_lshrrev_b16_e32 v5, 1, v5
	v_and_b32_e32 v5, 0x7f, v5
	v_add_u16_sdwa v4, v5, v4 dst_sel:DWORD dst_unused:UNUSED_PAD src0_sel:DWORD src1_sel:BYTE_1
	v_lshrrev_b16_e32 v24, 3, v4
	v_mul_lo_u16_e32 v4, 11, v24
	v_sub_u16_e32 v25, v0, v4
	v_mov_b32_e32 v4, 5
	v_lshlrev_b32_sdwa v12, v4, v25 dst_sel:DWORD dst_unused:UNUSED_PAD src0_sel:DWORD src1_sel:BYTE_0
	s_waitcnt lgkmcnt(0)
	; wave barrier
	s_waitcnt lgkmcnt(0)
	global_load_dwordx4 v[4:7], v12, s[8:9]
	global_load_dwordx4 v[8:11], v12, s[8:9] offset:16
	ds_read2_b32 v[12:13], v14 offset1:55
	ds_read2_b32 v[18:19], v14 offset0:110 offset1:165
	v_add_u32_e32 v17, 0x200, v14
	ds_read2_b32 v[20:21], v16 offset0:74 offset1:129
	ds_read_b32 v16, v14 offset:1760
	ds_read2_b32 v[22:23], v17 offset0:92 offset1:147
	s_waitcnt lgkmcnt(4)
	v_lshrrev_b32_e32 v29, 16, v13
	s_waitcnt lgkmcnt(3)
	v_lshrrev_b32_e32 v30, 16, v18
	s_waitcnt lgkmcnt(2)
	v_lshrrev_b32_e32 v26, 16, v20
	s_waitcnt lgkmcnt(1)
	v_lshrrev_b32_e32 v28, 16, v16
	v_lshrrev_b32_e32 v27, 16, v21
	s_waitcnt lgkmcnt(0)
	v_lshrrev_b32_e32 v33, 16, v22
	v_lshrrev_b32_e32 v31, 16, v19
	s_movk_i32 s3, 0x3a21
	v_lshrrev_b32_e32 v32, 16, v12
	v_lshrrev_b32_e32 v34, 16, v23
	s_movk_i32 s0, 0x3be1
	s_movk_i32 s4, 0x318f
	;; [unrolled: 1-line block ×4, first 2 shown]
	s_mov_b32 s5, 0xbb84
	s_mov_b32 s6, 0xb924
	s_waitcnt lgkmcnt(0)
	; wave barrier
	s_waitcnt vmcnt(1)
	v_mul_f16_sdwa v35, v4, v29 dst_sel:DWORD dst_unused:UNUSED_PAD src0_sel:WORD_1 src1_sel:DWORD
	v_mul_f16_sdwa v36, v4, v13 dst_sel:DWORD dst_unused:UNUSED_PAD src0_sel:WORD_1 src1_sel:DWORD
	s_waitcnt vmcnt(0)
	v_mul_f16_sdwa v49, v28, v11 dst_sel:DWORD dst_unused:UNUSED_PAD src0_sel:DWORD src1_sel:WORD_1
	v_mul_f16_sdwa v50, v16, v11 dst_sel:DWORD dst_unused:UNUSED_PAD src0_sel:DWORD src1_sel:WORD_1
	v_mul_f16_sdwa v37, v5, v30 dst_sel:DWORD dst_unused:UNUSED_PAD src0_sel:WORD_1 src1_sel:DWORD
	v_mul_f16_sdwa v38, v5, v18 dst_sel:DWORD dst_unused:UNUSED_PAD src0_sel:WORD_1 src1_sel:DWORD
	;; [unrolled: 1-line block ×4, first 2 shown]
	v_mul_f16_sdwa v45, v26, v9 dst_sel:DWORD dst_unused:UNUSED_PAD src0_sel:DWORD src1_sel:WORD_1
	v_mul_f16_sdwa v46, v20, v9 dst_sel:DWORD dst_unused:UNUSED_PAD src0_sel:DWORD src1_sel:WORD_1
	;; [unrolled: 1-line block ×4, first 2 shown]
	v_fma_f16 v13, v4, v13, v35
	v_fma_f16 v4, v4, v29, -v36
	v_fma_f16 v16, v16, v11, v49
	v_fma_f16 v11, v28, v11, -v50
	v_mul_f16_sdwa v39, v6, v31 dst_sel:DWORD dst_unused:UNUSED_PAD src0_sel:WORD_1 src1_sel:DWORD
	v_mul_f16_sdwa v40, v6, v19 dst_sel:DWORD dst_unused:UNUSED_PAD src0_sel:WORD_1 src1_sel:DWORD
	v_fma_f16 v18, v5, v18, v37
	v_fma_f16 v5, v5, v30, -v38
	v_fma_f16 v22, v7, v22, v41
	v_fma_f16 v29, v7, v33, -v42
	;; [unrolled: 2-line block ×4, first 2 shown]
	v_add_f16_e32 v21, v13, v16
	v_add_f16_e32 v26, v4, v11
	v_sub_f16_e32 v13, v13, v16
	v_mul_f16_sdwa v43, v8, v34 dst_sel:DWORD dst_unused:UNUSED_PAD src0_sel:WORD_1 src1_sel:DWORD
	v_mul_f16_sdwa v44, v8, v23 dst_sel:DWORD dst_unused:UNUSED_PAD src0_sel:WORD_1 src1_sel:DWORD
	v_fma_f16 v19, v6, v19, v39
	v_fma_f16 v6, v6, v31, -v40
	v_add_f16_e32 v28, v5, v10
	v_sub_f16_e32 v11, v4, v11
	v_sub_f16_e32 v33, v18, v20
	v_mul_f16_e32 v4, 0x3924, v13
	v_fma_f16 v16, v26, s3, v32
	v_fma_f16 v23, v8, v23, v43
	v_fma_f16 v8, v8, v34, -v44
	v_add_f16_e32 v27, v18, v20
	v_add_f16_e32 v30, v19, v7
	;; [unrolled: 1-line block ×3, first 2 shown]
	v_sub_f16_e32 v10, v5, v10
	v_sub_f16_e32 v19, v19, v7
	v_mul_f16_e32 v5, 0x3924, v11
	v_fma_f16 v7, v21, s3, v12
	v_fma_f16 v4, v33, s0, v4
	;; [unrolled: 1-line block ×3, first 2 shown]
	v_sub_f16_e32 v6, v6, v9
	v_sub_f16_e32 v9, v22, v23
	v_add_f16_e32 v36, v29, v8
	v_fma_f16 v5, v10, s0, v5
	v_fma_f16 v7, v27, s4, v7
	;; [unrolled: 1-line block ×3, first 2 shown]
	v_fma_f16 v16, v31, -0.5, v16
	v_sub_f16_e32 v34, v29, v8
	v_add_f16_e32 v35, v22, v23
	v_fma_f16 v5, v6, s1, v5
	v_fma_f16 v7, v30, -0.5, v7
	v_fma_f16 v4, v9, s2, v4
	v_fma_f16 v16, v36, s5, v16
	;; [unrolled: 1-line block ×4, first 2 shown]
	v_add_f16_e32 v38, v4, v16
	v_sub_f16_e32 v37, v7, v5
	v_fma_f16 v16, v4, -2.0, v38
	v_mul_f16_e32 v4, 0xb924, v9
	v_mul_f16_e32 v7, 0xb924, v34
	v_fma_f16 v20, v36, s3, v32
	v_fma_f16 v4, v13, s0, v4
	;; [unrolled: 1-line block ×3, first 2 shown]
	s_mov_b32 s0, 0xbaee
	v_fma_f16 v20, v26, s4, v20
	v_fma_f16 v4, v19, s0, v4
	v_fma_f16 v20, v31, -0.5, v20
	v_fma_f16 v18, v33, s2, v4
	v_fma_f16 v20, v28, s5, v20
	;; [unrolled: 1-line block ×3, first 2 shown]
	v_add_f16_e32 v40, v18, v20
	v_add_f16_e32 v20, v34, v11
	v_mul_f16_e32 v34, 0x3be1, v34
	v_fma_f16 v4, v10, s2, v7
	v_fma_f16 v7, v35, s3, v12
	v_sub_f16_e32 v20, v20, v10
	v_add_f16_e32 v45, v27, v21
	v_fma_f16 v10, v10, s6, -v34
	v_fma_f16 v7, v21, s4, v7
	v_add_f16_e32 v46, v28, v26
	v_fma_f16 v6, v6, s1, v10
	v_add_f16_e32 v10, v30, v45
	v_fma_f16 v7, v30, -0.5, v7
	v_fma_f16 v6, v11, s2, v6
	v_add_f16_e32 v11, v31, v46
	v_add_f16_e32 v10, v22, v10
	v_fma_f16 v7, v27, s5, v7
	v_add_f16_e32 v11, v29, v11
	v_add_f16_e32 v10, v23, v10
	v_sub_f16_e32 v39, v7, v4
	v_add_f16_e32 v7, v9, v13
	v_add_f16_e32 v43, v30, v12
	v_mul_f16_e32 v9, 0x3be1, v9
	v_add_f16_e32 v8, v8, v11
	v_add_f16_e32 v10, v12, v10
	v_fma_f16 v11, v27, s3, v12
	v_fma_f16 v12, v28, s3, v32
	v_fma_f16 v9, v33, s6, -v9
	v_fma_f16 v12, v36, s4, v12
	v_fma_f16 v9, v19, s1, v9
	v_fma_f16 v12, v31, -0.5, v12
	v_fma_f16 v9, v13, s2, v9
	v_fma_f16 v11, v35, s4, v11
	;; [unrolled: 1-line block ×3, first 2 shown]
	v_add_f16_e32 v44, v31, v32
	v_add_f16_e32 v47, v35, v45
	;; [unrolled: 1-line block ×3, first 2 shown]
	v_fma_f16 v11, v30, -0.5, v11
	v_add_f16_e32 v12, v9, v12
	v_mov_b32_e32 v13, 2
	v_sub_f16_e32 v7, v7, v33
	v_fma_f16 v43, v47, -0.5, v43
	v_fma_f16 v44, v48, -0.5, v44
	v_add_f16_e32 v8, v32, v8
	v_fma_f16 v11, v21, s5, v11
	v_fma_f16 v19, v9, -2.0, v12
	v_mul_u32_u24_e32 v9, 0x18c, v24
	v_lshlrev_b32_sdwa v13, v13, v25 dst_sel:DWORD dst_unused:UNUSED_PAD src0_sel:DWORD src1_sel:BYTE_0
	v_fma_f16 v43, v20, s0, v43
	v_fma_f16 v44, v7, s1, v44
	v_sub_f16_e32 v11, v11, v6
	v_add3_u32 v9, 0, v9, v13
	v_pack_b32_f16 v8, v10, v8
	v_pack_b32_f16 v10, v37, v38
	v_mul_f16_e32 v41, 0x3aee, v7
	v_mul_f16_e32 v42, 0x3aee, v20
	v_fma_f16 v6, v6, 2.0, v11
	ds_write2_b32 v9, v8, v10 offset1:11
	v_pack_b32_f16 v8, v39, v40
	v_pack_b32_f16 v10, v43, v44
	v_fma_f16 v4, v4, 2.0, v39
	v_fma_f16 v18, v18, -2.0, v40
	v_fma_f16 v7, v42, 2.0, v43
	v_fma_f16 v20, v41, -2.0, v44
	ds_write2_b32 v9, v8, v10 offset0:22 offset1:33
	v_pack_b32_f16 v8, v11, v12
	v_pack_b32_f16 v10, v6, v19
	v_fma_f16 v5, v5, 2.0, v37
	ds_write2_b32 v9, v8, v10 offset0:44 offset1:55
	v_pack_b32_f16 v8, v7, v20
	v_pack_b32_f16 v10, v4, v18
	ds_write2_b32 v9, v8, v10 offset0:66 offset1:77
	v_pack_b32_f16 v8, v5, v16
	ds_write_b32 v9, v8 offset:352
	s_waitcnt lgkmcnt(0)
	; wave barrier
	s_waitcnt lgkmcnt(0)
	ds_read2_b32 v[8:9], v14 offset1:99
	ds_read2_b32 v[12:13], v17 offset0:70 offset1:169
	ds_read_b32 v21, v14 offset:1584
	v_cmp_gt_u32_e64 s[0:1], 44, v0
	s_and_saveexec_b64 s[2:3], s[0:1]
	s_cbranch_execz .LBB0_15
; %bb.14:
	ds_read2_b32 v[6:7], v14 offset0:55 offset1:154
	ds_read_b32 v1, v14 offset:1804
	ds_read2_b32 v[4:5], v17 offset0:125 offset1:224
	s_waitcnt lgkmcnt(2)
	v_lshrrev_b32_e32 v19, 16, v6
	s_waitcnt lgkmcnt(1)
	v_lshrrev_b32_e32 v15, 16, v1
	v_lshrrev_b32_e32 v20, 16, v7
	s_waitcnt lgkmcnt(0)
	v_lshrrev_b32_e32 v18, 16, v4
	v_lshrrev_b32_e32 v16, 16, v5
.LBB0_15:
	s_or_b64 exec, exec, s[2:3]
	v_lshlrev_b32_e32 v10, 2, v0
	v_mov_b32_e32 v11, 0
	v_lshlrev_b64 v[22:23], 2, v[10:11]
	v_mov_b32_e32 v10, s9
	v_add_co_u32_e64 v22, s[2:3], s8, v22
	v_addc_co_u32_e64 v23, s[2:3], v10, v23, s[2:3]
	global_load_dwordx4 v[22:25], v[22:23], off offset:352
	s_waitcnt lgkmcnt(0)
	v_lshrrev_b32_e32 v26, 16, v21
	v_lshrrev_b32_e32 v27, 16, v13
	;; [unrolled: 1-line block ×5, first 2 shown]
	s_mov_b32 s6, 0xbb9c
	s_movk_i32 s10, 0x3b9c
	s_mov_b32 s5, 0xb8b4
	s_movk_i32 s7, 0x38b4
	s_movk_i32 s4, 0x34f2
	s_waitcnt lgkmcnt(0)
	; wave barrier
	s_waitcnt vmcnt(0)
	v_mul_f16_sdwa v30, v22, v29 dst_sel:DWORD dst_unused:UNUSED_PAD src0_sel:WORD_1 src1_sel:DWORD
	v_mul_f16_sdwa v31, v22, v9 dst_sel:DWORD dst_unused:UNUSED_PAD src0_sel:WORD_1 src1_sel:DWORD
	;; [unrolled: 1-line block ×8, first 2 shown]
	v_fma_f16 v9, v22, v9, v30
	v_fma_f16 v22, v22, v29, -v31
	v_fma_f16 v12, v23, v12, v32
	v_fma_f16 v23, v23, v28, -v33
	;; [unrolled: 2-line block ×4, first 2 shown]
	v_add_f16_e32 v26, v8, v9
	v_add_f16_e32 v27, v12, v13
	v_sub_f16_e32 v30, v9, v12
	v_sub_f16_e32 v31, v21, v13
	v_add_f16_e32 v35, v10, v22
	v_add_f16_e32 v36, v23, v24
	v_sub_f16_e32 v28, v22, v25
	v_sub_f16_e32 v29, v23, v24
	v_add_f16_e32 v32, v9, v21
	v_sub_f16_e32 v33, v12, v9
	v_sub_f16_e32 v9, v9, v21
	;; [unrolled: 1-line block ×4, first 2 shown]
	v_add_f16_e32 v40, v22, v25
	v_sub_f16_e32 v22, v23, v22
	v_add_f16_e32 v12, v26, v12
	v_fma_f16 v26, v27, -0.5, v8
	v_add_f16_e32 v27, v30, v31
	v_add_f16_e32 v23, v35, v23
	v_fma_f16 v31, v36, -0.5, v10
	v_sub_f16_e32 v34, v13, v21
	v_sub_f16_e32 v39, v25, v24
	;; [unrolled: 1-line block ×3, first 2 shown]
	v_fma_f16 v8, v32, -0.5, v8
	v_fma_f16 v10, v40, -0.5, v10
	v_add_f16_e32 v12, v12, v13
	v_fma_f16 v13, v28, s6, v26
	v_add_f16_e32 v23, v23, v24
	v_fma_f16 v24, v9, s10, v31
	v_add_f16_e32 v30, v33, v34
	v_add_f16_e32 v32, v38, v39
	v_fma_f16 v26, v28, s10, v26
	v_fma_f16 v33, v29, s10, v8
	;; [unrolled: 1-line block ×7, first 2 shown]
	v_add_f16_e32 v22, v22, v41
	v_fma_f16 v31, v9, s6, v31
	v_add_f16_e32 v12, v12, v21
	v_fma_f16 v21, v29, s7, v26
	v_fma_f16 v26, v28, s5, v33
	;; [unrolled: 1-line block ×3, first 2 shown]
	v_add_f16_e32 v23, v23, v25
	v_fma_f16 v28, v9, s7, v34
	v_fma_f16 v9, v9, s5, v10
	v_fma_f16 v10, v27, s4, v13
	v_fma_f16 v24, v32, s4, v24
	v_fma_f16 v25, v37, s5, v31
	v_fma_f16 v13, v27, s4, v21
	v_fma_f16 v21, v30, s4, v26
	v_fma_f16 v8, v30, s4, v8
	v_fma_f16 v26, v22, s4, v28
	v_fma_f16 v9, v22, s4, v9
	v_pack_b32_f16 v12, v12, v23
	v_pack_b32_f16 v10, v10, v24
	v_fma_f16 v25, v32, s4, v25
	ds_write2_b32 v14, v12, v10 offset1:99
	v_pack_b32_f16 v10, v21, v26
	v_pack_b32_f16 v8, v8, v9
	ds_write2_b32 v17, v10, v8 offset0:70 offset1:169
	v_pack_b32_f16 v8, v13, v25
	ds_write_b32 v14, v8 offset:1584
	s_and_saveexec_b64 s[2:3], s[0:1]
	s_cbranch_execz .LBB0_17
; %bb.16:
	v_not_b32_e32 v8, 43
	v_cndmask_b32_e64 v8, v8, 55, s[0:1]
	v_add_lshl_u32 v10, v0, v8, 2
	v_lshlrev_b64 v[8:9], 2, v[10:11]
	v_mov_b32_e32 v10, s9
	v_add_co_u32_e64 v8, s[0:1], s8, v8
	v_addc_co_u32_e64 v9, s[0:1], v10, v9, s[0:1]
	global_load_dwordx4 v[8:11], v[8:9], off offset:352
	v_add_u32_e32 v12, 0x200, v14
	s_waitcnt vmcnt(0)
	v_mul_f16_sdwa v13, v4, v9 dst_sel:DWORD dst_unused:UNUSED_PAD src0_sel:DWORD src1_sel:WORD_1
	v_mul_f16_sdwa v17, v7, v8 dst_sel:DWORD dst_unused:UNUSED_PAD src0_sel:DWORD src1_sel:WORD_1
	;; [unrolled: 1-line block ×8, first 2 shown]
	v_fma_f16 v13, v18, v9, -v13
	v_fma_f16 v17, v20, v8, -v17
	;; [unrolled: 1-line block ×4, first 2 shown]
	v_fma_f16 v4, v4, v9, v23
	v_fma_f16 v5, v5, v10, v24
	;; [unrolled: 1-line block ×4, first 2 shown]
	v_sub_f16_e32 v8, v13, v17
	v_sub_f16_e32 v9, v16, v15
	v_add_f16_e32 v11, v17, v15
	v_sub_f16_e32 v20, v4, v7
	v_sub_f16_e32 v21, v5, v1
	v_add_f16_e32 v23, v7, v1
	v_add_f16_e32 v27, v13, v16
	;; [unrolled: 1-line block ×3, first 2 shown]
	v_sub_f16_e32 v10, v4, v5
	v_sub_f16_e32 v18, v7, v1
	;; [unrolled: 1-line block ×7, first 2 shown]
	v_add_f16_e32 v17, v19, v17
	v_add_f16_e32 v7, v6, v7
	v_add_f16_e32 v8, v8, v9
	v_fma_f16 v9, v11, -0.5, v19
	v_add_f16_e32 v11, v20, v21
	v_fma_f16 v20, v23, -0.5, v6
	v_fma_f16 v19, v27, -0.5, v19
	;; [unrolled: 1-line block ×3, first 2 shown]
	v_sub_f16_e32 v29, v1, v5
	v_add_f16_e32 v21, v25, v26
	v_add_f16_e32 v13, v17, v13
	;; [unrolled: 1-line block ×3, first 2 shown]
	v_fma_f16 v7, v10, s10, v9
	v_fma_f16 v17, v24, s6, v20
	;; [unrolled: 1-line block ×6, first 2 shown]
	v_add_f16_e32 v23, v28, v29
	v_add_f16_e32 v13, v13, v16
	;; [unrolled: 1-line block ×3, first 2 shown]
	v_fma_f16 v5, v18, s6, v19
	v_fma_f16 v6, v22, s10, v6
	;; [unrolled: 1-line block ×8, first 2 shown]
	v_add_f16_e32 v13, v13, v15
	v_add_f16_e32 v1, v4, v1
	v_fma_f16 v4, v10, s5, v5
	v_fma_f16 v5, v24, s7, v6
	;; [unrolled: 1-line block ×10, first 2 shown]
	v_pack_b32_f16 v1, v1, v13
	v_pack_b32_f16 v10, v11, v10
	;; [unrolled: 1-line block ×5, first 2 shown]
	ds_write2_b32 v14, v1, v10 offset0:55 offset1:154
	ds_write2_b32 v12, v8, v6 offset0:125 offset1:224
	ds_write_b32 v14, v4 offset:1804
.LBB0_17:
	s_or_b64 exec, exec, s[2:3]
	s_waitcnt lgkmcnt(0)
	; wave barrier
	s_waitcnt lgkmcnt(0)
	s_and_saveexec_b64 s[0:1], vcc
	s_cbranch_execz .LBB0_19
; %bb.18:
	v_mov_b32_e32 v1, 0
	ds_read2_b32 v[4:5], v14 offset1:55
	v_mov_b32_e32 v6, s13
	v_add_co_u32_e32 v7, vcc, s12, v2
	v_lshlrev_b64 v[0:1], 2, v[0:1]
	v_addc_co_u32_e32 v6, vcc, v6, v3, vcc
	ds_read2_b32 v[2:3], v14 offset0:110 offset1:165
	v_add_co_u32_e32 v0, vcc, v7, v0
	v_addc_co_u32_e32 v1, vcc, v6, v1, vcc
	s_waitcnt lgkmcnt(1)
	global_store_dword v[0:1], v4, off
	global_store_dword v[0:1], v5, off offset:220
	s_waitcnt lgkmcnt(0)
	global_store_dword v[0:1], v2, off offset:440
	v_add_u32_e32 v2, 0x200, v14
	ds_read2_b32 v[4:5], v2 offset0:92 offset1:147
	v_add_u32_e32 v2, 0x400, v14
	ds_read2_b32 v[6:7], v2 offset0:74 offset1:129
	ds_read_b32 v2, v14 offset:1760
	global_store_dword v[0:1], v3, off offset:660
	s_waitcnt lgkmcnt(2)
	global_store_dword v[0:1], v4, off offset:880
	global_store_dword v[0:1], v5, off offset:1100
	s_waitcnt lgkmcnt(1)
	global_store_dword v[0:1], v6, off offset:1320
	global_store_dword v[0:1], v7, off offset:1540
	s_waitcnt lgkmcnt(0)
	global_store_dword v[0:1], v2, off offset:1760
.LBB0_19:
	s_endpgm
	.section	.rodata,"a",@progbits
	.p2align	6, 0x0
	.amdhsa_kernel fft_rtc_back_len495_factors_11_9_5_wgs_55_tpt_55_half_ip_CI_unitstride_sbrr_dirReg
		.amdhsa_group_segment_fixed_size 0
		.amdhsa_private_segment_fixed_size 0
		.amdhsa_kernarg_size 88
		.amdhsa_user_sgpr_count 6
		.amdhsa_user_sgpr_private_segment_buffer 1
		.amdhsa_user_sgpr_dispatch_ptr 0
		.amdhsa_user_sgpr_queue_ptr 0
		.amdhsa_user_sgpr_kernarg_segment_ptr 1
		.amdhsa_user_sgpr_dispatch_id 0
		.amdhsa_user_sgpr_flat_scratch_init 0
		.amdhsa_user_sgpr_private_segment_size 0
		.amdhsa_uses_dynamic_stack 0
		.amdhsa_system_sgpr_private_segment_wavefront_offset 0
		.amdhsa_system_sgpr_workgroup_id_x 1
		.amdhsa_system_sgpr_workgroup_id_y 0
		.amdhsa_system_sgpr_workgroup_id_z 0
		.amdhsa_system_sgpr_workgroup_info 0
		.amdhsa_system_vgpr_workitem_id 0
		.amdhsa_next_free_vgpr 69
		.amdhsa_next_free_sgpr 22
		.amdhsa_reserve_vcc 1
		.amdhsa_reserve_flat_scratch 0
		.amdhsa_float_round_mode_32 0
		.amdhsa_float_round_mode_16_64 0
		.amdhsa_float_denorm_mode_32 3
		.amdhsa_float_denorm_mode_16_64 3
		.amdhsa_dx10_clamp 1
		.amdhsa_ieee_mode 1
		.amdhsa_fp16_overflow 0
		.amdhsa_exception_fp_ieee_invalid_op 0
		.amdhsa_exception_fp_denorm_src 0
		.amdhsa_exception_fp_ieee_div_zero 0
		.amdhsa_exception_fp_ieee_overflow 0
		.amdhsa_exception_fp_ieee_underflow 0
		.amdhsa_exception_fp_ieee_inexact 0
		.amdhsa_exception_int_div_zero 0
	.end_amdhsa_kernel
	.text
.Lfunc_end0:
	.size	fft_rtc_back_len495_factors_11_9_5_wgs_55_tpt_55_half_ip_CI_unitstride_sbrr_dirReg, .Lfunc_end0-fft_rtc_back_len495_factors_11_9_5_wgs_55_tpt_55_half_ip_CI_unitstride_sbrr_dirReg
                                        ; -- End function
	.section	.AMDGPU.csdata,"",@progbits
; Kernel info:
; codeLenInByte = 6156
; NumSgprs: 26
; NumVgprs: 69
; ScratchSize: 0
; MemoryBound: 0
; FloatMode: 240
; IeeeMode: 1
; LDSByteSize: 0 bytes/workgroup (compile time only)
; SGPRBlocks: 3
; VGPRBlocks: 17
; NumSGPRsForWavesPerEU: 26
; NumVGPRsForWavesPerEU: 69
; Occupancy: 3
; WaveLimiterHint : 1
; COMPUTE_PGM_RSRC2:SCRATCH_EN: 0
; COMPUTE_PGM_RSRC2:USER_SGPR: 6
; COMPUTE_PGM_RSRC2:TRAP_HANDLER: 0
; COMPUTE_PGM_RSRC2:TGID_X_EN: 1
; COMPUTE_PGM_RSRC2:TGID_Y_EN: 0
; COMPUTE_PGM_RSRC2:TGID_Z_EN: 0
; COMPUTE_PGM_RSRC2:TIDIG_COMP_CNT: 0
	.type	__hip_cuid_d144421b3b972527,@object ; @__hip_cuid_d144421b3b972527
	.section	.bss,"aw",@nobits
	.globl	__hip_cuid_d144421b3b972527
__hip_cuid_d144421b3b972527:
	.byte	0                               ; 0x0
	.size	__hip_cuid_d144421b3b972527, 1

	.ident	"AMD clang version 19.0.0git (https://github.com/RadeonOpenCompute/llvm-project roc-6.4.0 25133 c7fe45cf4b819c5991fe208aaa96edf142730f1d)"
	.section	".note.GNU-stack","",@progbits
	.addrsig
	.addrsig_sym __hip_cuid_d144421b3b972527
	.amdgpu_metadata
---
amdhsa.kernels:
  - .args:
      - .actual_access:  read_only
        .address_space:  global
        .offset:         0
        .size:           8
        .value_kind:     global_buffer
      - .offset:         8
        .size:           8
        .value_kind:     by_value
      - .actual_access:  read_only
        .address_space:  global
        .offset:         16
        .size:           8
        .value_kind:     global_buffer
      - .actual_access:  read_only
        .address_space:  global
        .offset:         24
        .size:           8
        .value_kind:     global_buffer
      - .offset:         32
        .size:           8
        .value_kind:     by_value
      - .actual_access:  read_only
        .address_space:  global
        .offset:         40
        .size:           8
        .value_kind:     global_buffer
      - .actual_access:  read_only
        .address_space:  global
        .offset:         48
        .size:           8
        .value_kind:     global_buffer
      - .offset:         56
        .size:           4
        .value_kind:     by_value
      - .actual_access:  read_only
        .address_space:  global
        .offset:         64
        .size:           8
        .value_kind:     global_buffer
      - .actual_access:  read_only
        .address_space:  global
        .offset:         72
        .size:           8
        .value_kind:     global_buffer
      - .address_space:  global
        .offset:         80
        .size:           8
        .value_kind:     global_buffer
    .group_segment_fixed_size: 0
    .kernarg_segment_align: 8
    .kernarg_segment_size: 88
    .language:       OpenCL C
    .language_version:
      - 2
      - 0
    .max_flat_workgroup_size: 55
    .name:           fft_rtc_back_len495_factors_11_9_5_wgs_55_tpt_55_half_ip_CI_unitstride_sbrr_dirReg
    .private_segment_fixed_size: 0
    .sgpr_count:     26
    .sgpr_spill_count: 0
    .symbol:         fft_rtc_back_len495_factors_11_9_5_wgs_55_tpt_55_half_ip_CI_unitstride_sbrr_dirReg.kd
    .uniform_work_group_size: 1
    .uses_dynamic_stack: false
    .vgpr_count:     69
    .vgpr_spill_count: 0
    .wavefront_size: 64
amdhsa.target:   amdgcn-amd-amdhsa--gfx906
amdhsa.version:
  - 1
  - 2
...

	.end_amdgpu_metadata
